;; amdgpu-corpus repo=ROCm/rocFFT kind=compiled arch=gfx1201 opt=O3
	.text
	.amdgcn_target "amdgcn-amd-amdhsa--gfx1201"
	.amdhsa_code_object_version 6
	.protected	fft_rtc_back_len1078_factors_2_11_7_7_wgs_231_tpt_77_halfLds_half_op_CI_CI_unitstride_sbrr_dirReg ; -- Begin function fft_rtc_back_len1078_factors_2_11_7_7_wgs_231_tpt_77_halfLds_half_op_CI_CI_unitstride_sbrr_dirReg
	.globl	fft_rtc_back_len1078_factors_2_11_7_7_wgs_231_tpt_77_halfLds_half_op_CI_CI_unitstride_sbrr_dirReg
	.p2align	8
	.type	fft_rtc_back_len1078_factors_2_11_7_7_wgs_231_tpt_77_halfLds_half_op_CI_CI_unitstride_sbrr_dirReg,@function
fft_rtc_back_len1078_factors_2_11_7_7_wgs_231_tpt_77_halfLds_half_op_CI_CI_unitstride_sbrr_dirReg: ; @fft_rtc_back_len1078_factors_2_11_7_7_wgs_231_tpt_77_halfLds_half_op_CI_CI_unitstride_sbrr_dirReg
; %bb.0:
	s_load_b128 s[8:11], s[0:1], 0x0
	v_mul_u32_u24_e32 v1, 0x354, v0
	s_clause 0x1
	s_load_b128 s[4:7], s[0:1], 0x58
	s_load_b128 s[12:15], s[0:1], 0x18
	v_mov_b32_e32 v5, 0
	v_mov_b32_e32 v3, 0
	;; [unrolled: 1-line block ×3, first 2 shown]
	v_lshrrev_b32_e32 v1, 16, v1
	s_delay_alu instid0(VALU_DEP_2) | instskip(NEXT) | instid1(VALU_DEP_2)
	v_dual_mov_b32 v17, v4 :: v_dual_mov_b32 v16, v3
	v_mad_co_u64_u32 v[1:2], null, ttmp9, 3, v[1:2]
	v_mov_b32_e32 v2, v5
	s_delay_alu instid0(VALU_DEP_1) | instskip(SKIP_2) | instid1(VALU_DEP_1)
	v_dual_mov_b32 v19, v2 :: v_dual_mov_b32 v18, v1
	s_wait_kmcnt 0x0
	v_cmp_lt_u64_e64 s2, s[10:11], 2
	s_and_b32 vcc_lo, exec_lo, s2
	s_cbranch_vccnz .LBB0_8
; %bb.1:
	s_load_b64 s[2:3], s[0:1], 0x10
	v_dual_mov_b32 v3, 0 :: v_dual_mov_b32 v8, v2
	v_dual_mov_b32 v4, 0 :: v_dual_mov_b32 v7, v1
	s_add_nc_u64 s[16:17], s[14:15], 8
	s_add_nc_u64 s[18:19], s[12:13], 8
	s_mov_b64 s[20:21], 1
	s_delay_alu instid0(VALU_DEP_1)
	v_dual_mov_b32 v17, v4 :: v_dual_mov_b32 v16, v3
	s_wait_kmcnt 0x0
	s_add_nc_u64 s[22:23], s[2:3], 8
	s_mov_b32 s3, 0
.LBB0_2:                                ; =>This Inner Loop Header: Depth=1
	s_load_b64 s[24:25], s[22:23], 0x0
                                        ; implicit-def: $vgpr18_vgpr19
	s_mov_b32 s2, exec_lo
	s_wait_kmcnt 0x0
	v_or_b32_e32 v6, s25, v8
	s_delay_alu instid0(VALU_DEP_1)
	v_cmpx_ne_u64_e32 0, v[5:6]
	s_wait_alu 0xfffe
	s_xor_b32 s26, exec_lo, s2
	s_cbranch_execz .LBB0_4
; %bb.3:                                ;   in Loop: Header=BB0_2 Depth=1
	s_cvt_f32_u32 s2, s24
	s_cvt_f32_u32 s27, s25
	s_sub_nc_u64 s[30:31], 0, s[24:25]
	s_wait_alu 0xfffe
	s_delay_alu instid0(SALU_CYCLE_1) | instskip(SKIP_1) | instid1(SALU_CYCLE_2)
	s_fmamk_f32 s2, s27, 0x4f800000, s2
	s_wait_alu 0xfffe
	v_s_rcp_f32 s2, s2
	s_delay_alu instid0(TRANS32_DEP_1) | instskip(SKIP_1) | instid1(SALU_CYCLE_2)
	s_mul_f32 s2, s2, 0x5f7ffffc
	s_wait_alu 0xfffe
	s_mul_f32 s27, s2, 0x2f800000
	s_wait_alu 0xfffe
	s_delay_alu instid0(SALU_CYCLE_2) | instskip(SKIP_1) | instid1(SALU_CYCLE_2)
	s_trunc_f32 s27, s27
	s_wait_alu 0xfffe
	s_fmamk_f32 s2, s27, 0xcf800000, s2
	s_cvt_u32_f32 s29, s27
	s_wait_alu 0xfffe
	s_delay_alu instid0(SALU_CYCLE_1) | instskip(SKIP_1) | instid1(SALU_CYCLE_2)
	s_cvt_u32_f32 s28, s2
	s_wait_alu 0xfffe
	s_mul_u64 s[34:35], s[30:31], s[28:29]
	s_wait_alu 0xfffe
	s_mul_hi_u32 s37, s28, s35
	s_mul_i32 s36, s28, s35
	s_mul_hi_u32 s2, s28, s34
	s_mul_i32 s33, s29, s34
	s_wait_alu 0xfffe
	s_add_nc_u64 s[36:37], s[2:3], s[36:37]
	s_mul_hi_u32 s27, s29, s34
	s_mul_hi_u32 s38, s29, s35
	s_add_co_u32 s2, s36, s33
	s_wait_alu 0xfffe
	s_add_co_ci_u32 s2, s37, s27
	s_mul_i32 s34, s29, s35
	s_add_co_ci_u32 s35, s38, 0
	s_wait_alu 0xfffe
	s_add_nc_u64 s[34:35], s[2:3], s[34:35]
	s_wait_alu 0xfffe
	v_add_co_u32 v2, s2, s28, s34
	s_delay_alu instid0(VALU_DEP_1) | instskip(SKIP_1) | instid1(VALU_DEP_1)
	s_cmp_lg_u32 s2, 0
	s_add_co_ci_u32 s29, s29, s35
	v_readfirstlane_b32 s28, v2
	s_wait_alu 0xfffe
	s_delay_alu instid0(VALU_DEP_1)
	s_mul_u64 s[30:31], s[30:31], s[28:29]
	s_wait_alu 0xfffe
	s_mul_hi_u32 s35, s28, s31
	s_mul_i32 s34, s28, s31
	s_mul_hi_u32 s2, s28, s30
	s_mul_i32 s33, s29, s30
	s_wait_alu 0xfffe
	s_add_nc_u64 s[34:35], s[2:3], s[34:35]
	s_mul_hi_u32 s27, s29, s30
	s_mul_hi_u32 s28, s29, s31
	s_wait_alu 0xfffe
	s_add_co_u32 s2, s34, s33
	s_add_co_ci_u32 s2, s35, s27
	s_mul_i32 s30, s29, s31
	s_add_co_ci_u32 s31, s28, 0
	s_wait_alu 0xfffe
	s_add_nc_u64 s[30:31], s[2:3], s[30:31]
	s_wait_alu 0xfffe
	v_add_co_u32 v2, s2, v2, s30
	s_delay_alu instid0(VALU_DEP_1) | instskip(SKIP_1) | instid1(VALU_DEP_1)
	s_cmp_lg_u32 s2, 0
	s_add_co_ci_u32 s2, s29, s31
	v_mul_hi_u32 v6, v7, v2
	s_wait_alu 0xfffe
	v_mad_co_u64_u32 v[9:10], null, v7, s2, 0
	v_mad_co_u64_u32 v[11:12], null, v8, v2, 0
	;; [unrolled: 1-line block ×3, first 2 shown]
	s_delay_alu instid0(VALU_DEP_3) | instskip(SKIP_1) | instid1(VALU_DEP_4)
	v_add_co_u32 v2, vcc_lo, v6, v9
	s_wait_alu 0xfffd
	v_add_co_ci_u32_e32 v6, vcc_lo, 0, v10, vcc_lo
	s_delay_alu instid0(VALU_DEP_2) | instskip(SKIP_1) | instid1(VALU_DEP_2)
	v_add_co_u32 v2, vcc_lo, v2, v11
	s_wait_alu 0xfffd
	v_add_co_ci_u32_e32 v2, vcc_lo, v6, v12, vcc_lo
	s_wait_alu 0xfffd
	v_add_co_ci_u32_e32 v6, vcc_lo, 0, v14, vcc_lo
	s_delay_alu instid0(VALU_DEP_2) | instskip(SKIP_1) | instid1(VALU_DEP_2)
	v_add_co_u32 v2, vcc_lo, v2, v13
	s_wait_alu 0xfffd
	v_add_co_ci_u32_e32 v6, vcc_lo, 0, v6, vcc_lo
	s_delay_alu instid0(VALU_DEP_2) | instskip(SKIP_1) | instid1(VALU_DEP_3)
	v_mul_lo_u32 v11, s25, v2
	v_mad_co_u64_u32 v[9:10], null, s24, v2, 0
	v_mul_lo_u32 v12, s24, v6
	s_delay_alu instid0(VALU_DEP_2) | instskip(NEXT) | instid1(VALU_DEP_2)
	v_sub_co_u32 v9, vcc_lo, v7, v9
	v_add3_u32 v10, v10, v12, v11
	s_delay_alu instid0(VALU_DEP_1) | instskip(SKIP_1) | instid1(VALU_DEP_1)
	v_sub_nc_u32_e32 v11, v8, v10
	s_wait_alu 0xfffd
	v_subrev_co_ci_u32_e64 v11, s2, s25, v11, vcc_lo
	v_add_co_u32 v12, s2, v2, 2
	s_wait_alu 0xf1ff
	v_add_co_ci_u32_e64 v13, s2, 0, v6, s2
	v_sub_co_u32 v14, s2, v9, s24
	v_sub_co_ci_u32_e32 v10, vcc_lo, v8, v10, vcc_lo
	s_wait_alu 0xf1ff
	v_subrev_co_ci_u32_e64 v11, s2, 0, v11, s2
	s_delay_alu instid0(VALU_DEP_3) | instskip(NEXT) | instid1(VALU_DEP_3)
	v_cmp_le_u32_e32 vcc_lo, s24, v14
	v_cmp_eq_u32_e64 s2, s25, v10
	s_wait_alu 0xfffd
	v_cndmask_b32_e64 v14, 0, -1, vcc_lo
	v_cmp_le_u32_e32 vcc_lo, s25, v11
	s_wait_alu 0xfffd
	v_cndmask_b32_e64 v15, 0, -1, vcc_lo
	v_cmp_le_u32_e32 vcc_lo, s24, v9
	;; [unrolled: 3-line block ×3, first 2 shown]
	s_wait_alu 0xfffd
	v_cndmask_b32_e64 v18, 0, -1, vcc_lo
	v_cmp_eq_u32_e32 vcc_lo, s25, v11
	s_wait_alu 0xf1ff
	s_delay_alu instid0(VALU_DEP_2)
	v_cndmask_b32_e64 v9, v18, v9, s2
	s_wait_alu 0xfffd
	v_cndmask_b32_e32 v11, v15, v14, vcc_lo
	v_add_co_u32 v14, vcc_lo, v2, 1
	s_wait_alu 0xfffd
	v_add_co_ci_u32_e32 v15, vcc_lo, 0, v6, vcc_lo
	s_delay_alu instid0(VALU_DEP_3) | instskip(SKIP_1) | instid1(VALU_DEP_2)
	v_cmp_ne_u32_e32 vcc_lo, 0, v11
	s_wait_alu 0xfffd
	v_dual_cndmask_b32 v10, v15, v13 :: v_dual_cndmask_b32 v11, v14, v12
	v_cmp_ne_u32_e32 vcc_lo, 0, v9
	s_wait_alu 0xfffd
	s_delay_alu instid0(VALU_DEP_2) | instskip(NEXT) | instid1(VALU_DEP_3)
	v_cndmask_b32_e32 v19, v6, v10, vcc_lo
	v_cndmask_b32_e32 v18, v2, v11, vcc_lo
.LBB0_4:                                ;   in Loop: Header=BB0_2 Depth=1
	s_wait_alu 0xfffe
	s_and_not1_saveexec_b32 s2, s26
	s_cbranch_execz .LBB0_6
; %bb.5:                                ;   in Loop: Header=BB0_2 Depth=1
	v_cvt_f32_u32_e32 v2, s24
	s_sub_co_i32 s26, 0, s24
	v_mov_b32_e32 v19, v5
	s_delay_alu instid0(VALU_DEP_2) | instskip(NEXT) | instid1(TRANS32_DEP_1)
	v_rcp_iflag_f32_e32 v2, v2
	v_mul_f32_e32 v2, 0x4f7ffffe, v2
	s_delay_alu instid0(VALU_DEP_1) | instskip(SKIP_1) | instid1(VALU_DEP_1)
	v_cvt_u32_f32_e32 v2, v2
	s_wait_alu 0xfffe
	v_mul_lo_u32 v6, s26, v2
	s_delay_alu instid0(VALU_DEP_1) | instskip(NEXT) | instid1(VALU_DEP_1)
	v_mul_hi_u32 v6, v2, v6
	v_add_nc_u32_e32 v2, v2, v6
	s_delay_alu instid0(VALU_DEP_1) | instskip(NEXT) | instid1(VALU_DEP_1)
	v_mul_hi_u32 v2, v7, v2
	v_mul_lo_u32 v6, v2, s24
	v_add_nc_u32_e32 v9, 1, v2
	s_delay_alu instid0(VALU_DEP_2) | instskip(NEXT) | instid1(VALU_DEP_1)
	v_sub_nc_u32_e32 v6, v7, v6
	v_subrev_nc_u32_e32 v10, s24, v6
	v_cmp_le_u32_e32 vcc_lo, s24, v6
	s_wait_alu 0xfffd
	s_delay_alu instid0(VALU_DEP_2) | instskip(SKIP_1) | instid1(VALU_DEP_2)
	v_cndmask_b32_e32 v6, v6, v10, vcc_lo
	v_cndmask_b32_e32 v2, v2, v9, vcc_lo
	v_cmp_le_u32_e32 vcc_lo, s24, v6
	s_delay_alu instid0(VALU_DEP_2) | instskip(SKIP_1) | instid1(VALU_DEP_1)
	v_add_nc_u32_e32 v9, 1, v2
	s_wait_alu 0xfffd
	v_cndmask_b32_e32 v18, v2, v9, vcc_lo
.LBB0_6:                                ;   in Loop: Header=BB0_2 Depth=1
	s_wait_alu 0xfffe
	s_or_b32 exec_lo, exec_lo, s2
	v_mul_lo_u32 v2, v19, s24
	s_delay_alu instid0(VALU_DEP_2)
	v_mul_lo_u32 v6, v18, s25
	s_load_b64 s[26:27], s[18:19], 0x0
	v_mad_co_u64_u32 v[9:10], null, v18, s24, 0
	s_load_b64 s[24:25], s[16:17], 0x0
	s_add_nc_u64 s[20:21], s[20:21], 1
	s_add_nc_u64 s[16:17], s[16:17], 8
	s_wait_alu 0xfffe
	v_cmp_ge_u64_e64 s2, s[20:21], s[10:11]
	s_add_nc_u64 s[18:19], s[18:19], 8
	s_add_nc_u64 s[22:23], s[22:23], 8
	v_add3_u32 v2, v10, v6, v2
	v_sub_co_u32 v6, vcc_lo, v7, v9
	s_wait_alu 0xfffd
	s_delay_alu instid0(VALU_DEP_2) | instskip(SKIP_2) | instid1(VALU_DEP_1)
	v_sub_co_ci_u32_e32 v2, vcc_lo, v8, v2, vcc_lo
	s_and_b32 vcc_lo, exec_lo, s2
	s_wait_kmcnt 0x0
	v_mul_lo_u32 v7, s26, v2
	v_mul_lo_u32 v8, s27, v6
	v_mad_co_u64_u32 v[3:4], null, s26, v6, v[3:4]
	v_mul_lo_u32 v2, s24, v2
	v_mul_lo_u32 v9, s25, v6
	v_mad_co_u64_u32 v[16:17], null, s24, v6, v[16:17]
	s_delay_alu instid0(VALU_DEP_4) | instskip(NEXT) | instid1(VALU_DEP_2)
	v_add3_u32 v4, v8, v4, v7
	v_add3_u32 v17, v9, v17, v2
	s_wait_alu 0xfffe
	s_cbranch_vccnz .LBB0_8
; %bb.7:                                ;   in Loop: Header=BB0_2 Depth=1
	v_dual_mov_b32 v7, v18 :: v_dual_mov_b32 v8, v19
	s_branch .LBB0_2
.LBB0_8:
	s_load_b64 s[0:1], s[0:1], 0x28
	v_mul_hi_u32 v30, 0x3531ded, v0
	s_lshl_b64 s[10:11], s[10:11], 3
                                        ; implicit-def: $sgpr2
                                        ; implicit-def: $vgpr24
	s_wait_kmcnt 0x0
	v_cmp_gt_u64_e32 vcc_lo, s[0:1], v[18:19]
	v_cmp_le_u64_e64 s0, s[0:1], v[18:19]
	s_delay_alu instid0(VALU_DEP_1)
	s_and_saveexec_b32 s1, s0
	s_wait_alu 0xfffe
	s_xor_b32 s0, exec_lo, s1
; %bb.9:
	v_mul_u32_u24_e32 v2, 0x4d, v30
	s_mov_b32 s2, 0
                                        ; implicit-def: $vgpr30
                                        ; implicit-def: $vgpr3_vgpr4
	s_delay_alu instid0(VALU_DEP_1)
	v_sub_nc_u32_e32 v24, v0, v2
                                        ; implicit-def: $vgpr0
; %bb.10:
	s_wait_alu 0xfffe
	s_or_saveexec_b32 s1, s0
	v_dual_mov_b32 v2, s2 :: v_dual_mov_b32 v11, s2
	v_dual_mov_b32 v9, s2 :: v_dual_mov_b32 v8, s2
	;; [unrolled: 1-line block ×3, first 2 shown]
	v_mov_b32_e32 v5, s2
	s_add_nc_u64 s[2:3], s[14:15], s[10:11]
                                        ; implicit-def: $vgpr15
                                        ; implicit-def: $vgpr22
                                        ; implicit-def: $vgpr20
                                        ; implicit-def: $vgpr23
                                        ; implicit-def: $vgpr10
                                        ; implicit-def: $vgpr25
                                        ; implicit-def: $vgpr12
                                        ; implicit-def: $vgpr26
                                        ; implicit-def: $vgpr13
                                        ; implicit-def: $vgpr27
                                        ; implicit-def: $vgpr14
                                        ; implicit-def: $vgpr28
                                        ; implicit-def: $vgpr21
                                        ; implicit-def: $vgpr29
	s_wait_alu 0xfffe
	s_xor_b32 exec_lo, exec_lo, s1
	s_cbranch_execz .LBB0_12
; %bb.11:
	s_add_nc_u64 s[10:11], s[12:13], s[10:11]
	s_load_b64 s[10:11], s[10:11], 0x0
	s_wait_kmcnt 0x0
	v_mul_lo_u32 v2, s11, v18
	v_mul_lo_u32 v7, s10, v19
	v_mad_co_u64_u32 v[5:6], null, s10, v18, 0
	s_delay_alu instid0(VALU_DEP_1) | instskip(SKIP_2) | instid1(VALU_DEP_3)
	v_add3_u32 v6, v6, v7, v2
	v_mul_u32_u24_e32 v7, 0x4d, v30
	v_lshlrev_b64_e32 v[2:3], 2, v[3:4]
	v_lshlrev_b64_e32 v[5:6], 2, v[5:6]
	s_delay_alu instid0(VALU_DEP_3) | instskip(NEXT) | instid1(VALU_DEP_2)
	v_sub_nc_u32_e32 v24, v0, v7
	v_add_co_u32 v0, s0, s4, v5
	s_wait_alu 0xf1ff
	s_delay_alu instid0(VALU_DEP_3) | instskip(NEXT) | instid1(VALU_DEP_3)
	v_add_co_ci_u32_e64 v4, s0, s5, v6, s0
	v_lshlrev_b32_e32 v5, 2, v24
	s_delay_alu instid0(VALU_DEP_3) | instskip(SKIP_1) | instid1(VALU_DEP_3)
	v_add_co_u32 v0, s0, v0, v2
	s_wait_alu 0xf1ff
	v_add_co_ci_u32_e64 v2, s0, v4, v3, s0
	s_delay_alu instid0(VALU_DEP_2) | instskip(SKIP_1) | instid1(VALU_DEP_2)
	v_add_co_u32 v3, s0, v0, v5
	s_wait_alu 0xf1ff
	v_add_co_ci_u32_e64 v4, s0, 0, v2, s0
	s_clause 0xd
	global_load_b32 v22, v[3:4], off offset:2156
	global_load_b32 v23, v[3:4], off offset:2464
	;; [unrolled: 1-line block ×7, first 2 shown]
	global_load_b32 v2, v[3:4], off
	global_load_b32 v11, v[3:4], off offset:308
	global_load_b32 v9, v[3:4], off offset:616
	;; [unrolled: 1-line block ×6, first 2 shown]
	s_wait_loadcnt 0xd
	v_lshrrev_b32_e32 v15, 16, v22
	s_wait_loadcnt 0xc
	v_lshrrev_b32_e32 v20, 16, v23
	;; [unrolled: 2-line block ×7, first 2 shown]
.LBB0_12:
	s_or_b32 exec_lo, exec_lo, s1
	v_mul_hi_u32 v0, 0xaaaaaaab, v1
	s_wait_loadcnt 0x6
	v_sub_f16_e32 v3, v2, v22
	s_wait_loadcnt 0x5
	v_sub_f16_e32 v4, v11, v23
	;; [unrolled: 2-line block ×5, first 2 shown]
	v_sub_f16_e32 v23, v8, v26
	s_wait_loadcnt 0x0
	v_sub_f16_e32 v41, v5, v29
	v_lshrrev_b32_e32 v0, 1, v0
	v_fma_f16 v29, v11, 2.0, -v4
	v_lshlrev_b32_e32 v26, 1, v24
	v_add_nc_u32_e32 v27, 0x4d, v24
	v_fma_f16 v30, v9, 2.0, -v22
	v_lshl_add_u32 v0, v0, 1, v0
	v_fma_f16 v32, v8, 2.0, -v23
	v_fma_f16 v33, v6, 2.0, -v31
	v_pack_b32_f16 v4, v29, v4
	v_fma_f16 v42, v5, 2.0, -v41
	v_sub_nc_u32_e32 v0, v1, v0
	v_fma_f16 v1, v2, 2.0, -v3
	v_pack_b32_f16 v22, v30, v22
	v_pack_b32_f16 v23, v32, v23
	v_pack_b32_f16 v30, v33, v31
	v_mul_u32_u24_e32 v0, 0x436, v0
	v_pack_b32_f16 v3, v1, v3
	v_pack_b32_f16 v32, v42, v41
	s_load_b64 s[2:3], s[2:3], 0x0
	v_cmp_gt_u32_e64 s0, 21, v24
	v_lshlrev_b32_e32 v28, 1, v0
	v_fma_f16 v0, v7, 2.0, -v25
                                        ; implicit-def: $vgpr57
                                        ; implicit-def: $vgpr58
                                        ; implicit-def: $vgpr59
                                        ; implicit-def: $vgpr50
                                        ; implicit-def: $vgpr53
                                        ; implicit-def: $vgpr60
                                        ; implicit-def: $vgpr63
                                        ; implicit-def: $vgpr65
	s_delay_alu instid0(VALU_DEP_2) | instskip(NEXT) | instid1(VALU_DEP_2)
	v_add_nc_u32_e32 v34, 0, v28
	v_pack_b32_f16 v29, v0, v25
	v_add3_u32 v25, 0, v26, v28
	s_delay_alu instid0(VALU_DEP_3) | instskip(SKIP_2) | instid1(VALU_DEP_3)
	v_lshl_add_u32 v0, v24, 2, v34
	v_lshl_add_u32 v1, v27, 2, v34
	v_add_nc_u32_e32 v26, v34, v26
	v_add_nc_u32_e32 v33, 0x200, v0
	;; [unrolled: 1-line block ×3, first 2 shown]
	ds_store_b32 v1, v4
	ds_store_2addr_b32 v0, v3, v22 offset1:154
	ds_store_2addr_b32 v33, v23, v29 offset0:103 offset1:180
	ds_store_2addr_b32 v35, v30, v32 offset0:129 offset1:206
	global_wb scope:SCOPE_SE
	s_wait_dscnt 0x0
	s_wait_kmcnt 0x0
	s_barrier_signal -1
	s_barrier_wait -1
	global_inv scope:SCOPE_SE
	ds_load_u16 v38, v26
	ds_load_u16 v64, v25 offset:196
	ds_load_u16 v62, v25 offset:392
	;; [unrolled: 1-line block ×10, first 2 shown]
	v_add_nc_u32_e32 v3, 0x268, v0
	v_add_nc_u32_e32 v4, 0x4d0, v0
	;; [unrolled: 1-line block ×3, first 2 shown]
	s_and_saveexec_b32 s1, s0
	s_cbranch_execz .LBB0_14
; %bb.13:
	ds_load_u16 v31, v25 offset:154
	ds_load_u16 v42, v25 offset:350
	;; [unrolled: 1-line block ×11, first 2 shown]
.LBB0_14:
	s_wait_alu 0xfffe
	s_or_b32 exec_lo, exec_lo, s1
	v_lshrrev_b32_e32 v2, 16, v2
	v_lshrrev_b32_e32 v8, 16, v8
	;; [unrolled: 1-line block ×5, first 2 shown]
	v_sub_f16_e32 v15, v2, v15
	v_lshrrev_b32_e32 v7, 16, v7
	v_lshrrev_b32_e32 v5, 16, v5
	v_sub_f16_e32 v12, v8, v12
	v_sub_f16_e32 v30, v6, v14
	;; [unrolled: 1-line block ×4, first 2 shown]
	v_fma_f16 v2, v2, 2.0, -v15
	v_sub_f16_e32 v13, v7, v13
	v_sub_f16_e32 v66, v5, v21
	v_fma_f16 v8, v8, 2.0, -v12
	v_fma_f16 v6, v6, 2.0, -v30
	;; [unrolled: 1-line block ×6, first 2 shown]
	v_pack_b32_f16 v2, v2, v15
	v_pack_b32_f16 v5, v8, v12
	;; [unrolled: 1-line block ×5, first 2 shown]
	global_wb scope:SCOPE_SE
	s_wait_dscnt 0x0
	s_barrier_signal -1
	s_barrier_wait -1
	global_inv scope:SCOPE_SE
	ds_store_2addr_b32 v0, v2, v5 offset1:231
	v_pack_b32_f16 v2, v7, v13
	v_pack_b32_f16 v5, v69, v66
	ds_store_b32 v0, v6 offset:1540
	ds_store_b32 v1, v8
	ds_store_b32 v3, v9
	;; [unrolled: 1-line block ×4, first 2 shown]
	global_wb scope:SCOPE_SE
	s_wait_dscnt 0x0
	s_barrier_signal -1
	s_barrier_wait -1
	global_inv scope:SCOPE_SE
	ds_load_u16 v32, v26
	ds_load_u16 v88, v25 offset:196
	ds_load_u16 v87, v25 offset:392
	;; [unrolled: 1-line block ×10, first 2 shown]
                                        ; implicit-def: $vgpr75
                                        ; implicit-def: $vgpr76
                                        ; implicit-def: $vgpr77
                                        ; implicit-def: $vgpr70
                                        ; implicit-def: $vgpr72
                                        ; implicit-def: $vgpr78
                                        ; implicit-def: $vgpr82
                                        ; implicit-def: $vgpr85
	s_and_saveexec_b32 s1, s0
	s_cbranch_execz .LBB0_16
; %bb.15:
	ds_load_u16 v30, v25 offset:154
	ds_load_u16 v69, v25 offset:350
	;; [unrolled: 1-line block ×11, first 2 shown]
.LBB0_16:
	s_wait_alu 0xfffe
	s_or_b32 exec_lo, exec_lo, s1
	v_and_b32_e32 v33, 1, v24
	v_and_b32_e32 v29, 1, v27
	v_lshrrev_b32_e32 v34, 1, v24
	s_delay_alu instid0(VALU_DEP_3) | instskip(NEXT) | instid1(VALU_DEP_3)
	v_mul_u32_u24_e32 v0, 10, v33
	v_mul_u32_u24_e32 v1, 10, v29
	s_delay_alu instid0(VALU_DEP_3) | instskip(NEXT) | instid1(VALU_DEP_3)
	v_mul_u32_u24_e32 v34, 22, v34
	v_lshlrev_b32_e32 v0, 2, v0
	s_delay_alu instid0(VALU_DEP_3) | instskip(NEXT) | instid1(VALU_DEP_3)
	v_lshlrev_b32_e32 v22, 2, v1
	v_or_b32_e32 v34, v34, v33
	v_lshrrev_b32_e32 v33, 1, v27
	s_clause 0x5
	global_load_b128 v[8:11], v0, s[8:9]
	global_load_b128 v[4:7], v0, s[8:9] offset:16
	global_load_b64 v[20:21], v0, s[8:9] offset:32
	global_load_b128 v[0:3], v22, s[8:9]
	global_load_b128 v[12:15], v22, s[8:9] offset:16
	global_load_b64 v[22:23], v22, s[8:9] offset:32
	v_lshlrev_b32_e32 v34, 1, v34
	global_wb scope:SCOPE_SE
	s_wait_loadcnt_dscnt 0x0
	s_barrier_signal -1
	s_barrier_wait -1
	global_inv scope:SCOPE_SE
	v_add3_u32 v44, 0, v34, v28
	v_lshrrev_b32_e32 v46, 16, v20
	v_lshrrev_b32_e32 v34, 16, v8
	;; [unrolled: 1-line block ×16, first 2 shown]
	v_mul_f16_e32 v94, v88, v34
	v_mul_f16_e32 v106, v64, v34
	;; [unrolled: 1-line block ×17, first 2 shown]
	v_lshrrev_b32_e32 v98, 16, v2
	v_lshrrev_b32_e32 v99, 16, v3
	v_lshrrev_b32_e32 v100, 16, v12
	v_lshrrev_b32_e32 v102, 16, v14
	v_mul_f16_e32 v67, v83, v39
	v_mul_f16_e32 v68, v80, v40
	;; [unrolled: 1-line block ×13, first 2 shown]
	v_fmac_f16_e32 v94, v64, v8
	v_fma_f16 v64, v88, v8, -v106
	v_fmac_f16_e32 v92, v62, v9
	v_fma_f16 v62, v87, v9, -v107
	;; [unrolled: 2-line block ×4, first 2 shown]
	v_fma_f16 v9, v83, v4, -v110
	v_fma_f16 v10, v80, v5, -v111
	v_fmac_f16_e32 v89, v51, v6
	v_fma_f16 v51, v79, v6, -v112
	v_fmac_f16_e32 v91, v49, v7
	;; [unrolled: 2-line block ×3, first 2 shown]
	v_fma_f16 v48, v73, v20, -v114
	v_fma_f16 v20, v71, v21, -v115
	v_mul_f16_e32 v96, v42, v96
	v_mul_f16_e32 v39, v75, v98
	;; [unrolled: 1-line block ×10, first 2 shown]
	v_fmac_f16_e32 v67, v54, v4
	v_fmac_f16_e32 v68, v52, v5
	;; [unrolled: 1-line block ×5, first 2 shown]
	v_fma_f16 v8, v66, v1, -v97
	v_fmac_f16_e32 v35, v65, v13
	v_fma_f16 v1, v85, v13, -v101
	v_fmac_f16_e32 v40, v60, v15
	;; [unrolled: 2-line block ×4, first 2 shown]
	v_sub_f16_e32 v13, v64, v20
	v_sub_f16_e32 v15, v62, v48
	;; [unrolled: 1-line block ×5, first 2 shown]
	v_add_f16_e32 v50, v38, v94
	v_fma_f16 v11, v69, v0, -v96
	v_fmac_f16_e32 v39, v57, v2
	v_fma_f16 v4, v75, v2, -v98
	v_fmac_f16_e32 v36, v58, v3
	;; [unrolled: 2-line block ×4, first 2 shown]
	v_fma_f16 v3, v82, v14, -v102
	v_fma_f16 v6, v70, v23, -v105
	v_add_f16_e32 v12, v94, v95
	v_add_f16_e32 v14, v92, v93
	;; [unrolled: 1-line block ×5, first 2 shown]
	v_mul_f16_e32 v52, 0xb853, v13
	v_mul_f16_e32 v53, 0xbb47, v13
	;; [unrolled: 1-line block ×25, first 2 shown]
	v_add_f16_e32 v50, v50, v92
	v_fmamk_f16 v79, v12, 0x3abb, v52
	v_fma_f16 v52, v12, 0x3abb, -v52
	v_fmamk_f16 v80, v12, 0x36a6, v53
	v_fma_f16 v53, v12, 0x36a6, -v53
	;; [unrolled: 2-line block ×25, first 2 shown]
	v_add_f16_e32 v47, v50, v90
	v_add_f16_e32 v50, v38, v79
	;; [unrolled: 1-line block ×58, first 2 shown]
	ds_store_b16 v44, v21 offset:8
	ds_store_b16 v44, v23 offset:12
	ds_store_b16 v44, v41 offset:16
	ds_store_b16 v44, v50 offset:20
	ds_store_b16 v44, v12 offset:24
	ds_store_b16 v44, v47 offset:28
	ds_store_b16 v44, v13 offset:4
	ds_store_b16 v44, v15
	ds_store_b16 v44, v38 offset:32
	ds_store_b16 v44, v22 offset:36
	;; [unrolled: 1-line block ×3, first 2 shown]
	s_and_saveexec_b32 s1, s0
	s_cbranch_execz .LBB0_18
; %bb.17:
	v_sub_f16_e32 v14, v11, v6
	v_add_f16_e32 v13, v46, v55
	v_sub_f16_e32 v21, v8, v7
	v_add_f16_e32 v15, v43, v45
	v_sub_f16_e32 v23, v4, v5
	v_mul_f16_e32 v50, 0xb482, v14
	v_add_f16_e32 v22, v39, v40
	v_mul_f16_e32 v52, 0x3853, v21
	v_sub_f16_e32 v41, v2, v3
	v_mul_f16_e32 v53, 0xba0c, v23
	v_fma_f16 v58, v13, 0xbbad, -v50
	v_fmac_f16_e32 v50, 0xbbad, v13
	v_fma_f16 v63, v15, 0x3abb, -v52
	v_fmac_f16_e32 v52, 0x3abb, v15
	v_add_f16_e32 v38, v36, v37
	v_add_f16_e32 v58, v31, v58
	;; [unrolled: 1-line block ×3, first 2 shown]
	v_sub_f16_e32 v47, v0, v1
	v_mul_f16_e32 v54, 0x3b47, v41
	v_fma_f16 v65, v22, 0xb93d, -v53
	v_add_f16_e32 v58, v63, v58
	v_fmac_f16_e32 v53, 0xb93d, v22
	v_add_f16_e32 v50, v52, v50
	v_add_f16_e32 v42, v34, v35
	v_mul_f16_e32 v57, 0xbbeb, v47
	v_mul_f16_e32 v59, 0xba0c, v14
	v_fma_f16 v66, v38, 0x36a6, -v54
	v_add_f16_e32 v58, v65, v58
	v_fmac_f16_e32 v54, 0x36a6, v38
	v_add_f16_e32 v50, v53, v50
	v_mul_f16_e32 v60, 0x3beb, v21
	v_fma_f16 v63, v42, 0xb08e, -v57
	v_fma_f16 v65, v13, 0xb93d, -v59
	v_add_f16_e32 v52, v66, v58
	v_add_f16_e32 v50, v54, v50
	v_fmac_f16_e32 v57, 0xb08e, v42
	v_fmac_f16_e32 v59, 0xb93d, v13
	v_add_f16_e32 v58, v31, v65
	v_add_f16_e32 v52, v63, v52
	v_fma_f16 v53, v15, 0xb08e, -v60
	v_mul_f16_e32 v63, 0xb853, v23
	v_add_f16_e32 v50, v57, v50
	v_add_f16_e32 v57, v31, v59
	v_fmac_f16_e32 v60, 0xb08e, v15
	v_add_f16_e32 v53, v53, v58
	v_fma_f16 v54, v22, 0x3abb, -v63
	v_mul_f16_e32 v58, 0xb482, v41
	v_fmac_f16_e32 v63, 0x3abb, v22
	v_add_f16_e32 v57, v60, v57
	v_mul_f16_e32 v59, 0x3b47, v47
	v_add_f16_e32 v53, v54, v53
	v_fma_f16 v54, v38, 0xbbad, -v58
	v_mul_f16_e32 v65, 0xbbeb, v14
	v_add_f16_e32 v57, v63, v57
	v_fmac_f16_e32 v58, 0xbbad, v38
	v_mul_f16_e32 v66, 0x3482, v21
	v_add_f16_e32 v53, v54, v53
	v_fma_f16 v54, v42, 0x36a6, -v59
	v_fma_f16 v60, v13, 0xb08e, -v65
	v_add_f16_e32 v57, v58, v57
	v_fmac_f16_e32 v59, 0x36a6, v42
	v_fmac_f16_e32 v65, 0xb08e, v13
	v_add_f16_e32 v53, v54, v53
	v_add_f16_e32 v54, v31, v60
	v_fma_f16 v60, v15, 0xbbad, -v66
	v_mul_f16_e32 v63, 0x3b47, v23
	v_add_f16_e32 v57, v59, v57
	v_add_f16_e32 v59, v31, v65
	v_fmac_f16_e32 v66, 0xbbad, v15
	v_add_f16_e32 v12, v31, v46
	v_add_f16_e32 v54, v60, v54
	v_fma_f16 v58, v22, 0x36a6, -v63
	v_mul_f16_e32 v60, 0xb853, v41
	v_add_f16_e32 v59, v66, v59
	v_fmac_f16_e32 v63, 0x36a6, v22
	v_add_f16_e32 v12, v12, v43
	v_add_f16_e32 v54, v58, v54
	v_fma_f16 v58, v38, 0x3abb, -v60
	v_mul_f16_e32 v65, 0xba0c, v47
	v_mul_f16_e32 v69, 0xbb47, v14
	v_add_f16_e32 v59, v63, v59
	v_fmac_f16_e32 v60, 0x3abb, v38
	v_add_f16_e32 v12, v12, v39
	v_add_f16_e32 v54, v58, v54
	v_fma_f16 v58, v42, 0xb93d, -v65
	v_fma_f16 v66, v13, 0x36a6, -v69
	v_mul_f16_e32 v70, 0xba0c, v21
	v_add_f16_e32 v59, v60, v59
	v_fmac_f16_e32 v65, 0xb93d, v42
	v_fmac_f16_e32 v69, 0x36a6, v13
	v_add_f16_e32 v12, v12, v36
	v_add_f16_e32 v54, v58, v54
	;; [unrolled: 1-line block ×3, first 2 shown]
	v_fma_f16 v63, v15, 0xb93d, -v70
	v_mul_f16_e32 v66, 0x3482, v23
	v_add_f16_e32 v59, v65, v59
	v_add_f16_e32 v65, v31, v69
	v_fmac_f16_e32 v70, 0xb93d, v15
	v_mul_f16_e32 v14, 0xb853, v14
	v_add_f16_e32 v12, v12, v34
	v_fma_f16 v60, v22, 0xbbad, -v66
	v_fmac_f16_e32 v66, 0xbbad, v22
	v_add_f16_e32 v65, v70, v65
	v_mul_f16_e32 v21, 0xbb47, v21
	v_fma_f16 v70, v13, 0x3abb, -v14
	v_fmac_f16_e32 v14, 0x3abb, v13
	v_add_f16_e32 v12, v12, v35
	v_add_f16_e32 v65, v66, v65
	v_fma_f16 v66, v15, 0x36a6, -v21
	v_fmac_f16_e32 v21, 0x36a6, v15
	v_add_f16_e32 v14, v31, v14
	v_mul_f16_e32 v23, 0xbbeb, v23
	v_add_f16_e32 v12, v12, v37
	v_add_f16_e32 v15, v31, v70
	;; [unrolled: 1-line block ×4, first 2 shown]
	v_mul_u32_u24_e32 v21, 22, v33
	v_mul_f16_e32 v63, 0x3beb, v41
	v_fma_f16 v31, v22, 0xb08e, -v23
	v_mul_f16_e32 v41, 0xba0c, v41
	v_fmac_f16_e32 v23, 0xb08e, v22
	v_add_f16_e32 v12, v12, v40
	v_add_f16_e32 v15, v66, v15
	v_or_b32_e32 v21, v21, v29
	v_mul_f16_e32 v69, 0x3853, v47
	v_fma_f16 v22, v38, 0xb93d, -v41
	v_mul_f16_e32 v47, 0xb482, v47
	v_add_f16_e32 v14, v23, v14
	v_fmac_f16_e32 v41, 0xb93d, v38
	v_add_f16_e32 v58, v60, v58
	v_fma_f16 v60, v38, 0xb08e, -v63
	v_fmac_f16_e32 v63, 0xb08e, v38
	v_add_f16_e32 v12, v12, v45
	v_add_f16_e32 v15, v31, v15
	v_lshlrev_b32_e32 v21, 1, v21
	v_fma_f16 v31, v42, 0xbbad, -v47
	v_add_f16_e32 v14, v41, v14
	v_fmac_f16_e32 v47, 0xbbad, v42
	v_fma_f16 v13, v42, 0x3abb, -v69
	v_add_f16_e32 v23, v63, v65
	v_fmac_f16_e32 v69, 0x3abb, v42
	v_add_f16_e32 v12, v12, v55
	v_add_f16_e32 v38, v60, v58
	v_add_f16_e32 v15, v22, v15
	v_add3_u32 v21, 0, v21, v28
	v_add_f16_e32 v14, v47, v14
	v_add_f16_e32 v22, v69, v23
	v_add_f16_e32 v13, v13, v38
	v_add_f16_e32 v15, v31, v15
	ds_store_b16 v21, v12
	ds_store_b16 v21, v14 offset:4
	ds_store_b16 v21, v22 offset:8
	;; [unrolled: 1-line block ×10, first 2 shown]
.LBB0_18:
	s_wait_alu 0xfffe
	s_or_b32 exec_lo, exec_lo, s1
	v_add_f16_e32 v12, v32, v64
	v_add_f16_e32 v13, v64, v20
	v_sub_f16_e32 v14, v94, v95
	v_add_f16_e32 v15, v62, v48
	v_sub_f16_e32 v21, v92, v93
	v_add_f16_e32 v12, v12, v62
	v_mul_f16_e32 v22, 0x3abb, v13
	v_mul_f16_e32 v23, 0x36a6, v13
	;; [unrolled: 1-line block ×4, first 2 shown]
	v_add_f16_e32 v12, v12, v61
	v_mul_f16_e32 v13, 0xbbad, v13
	v_mul_f16_e32 v41, 0x36a6, v15
	v_mul_f16_e32 v42, 0xb93d, v15
	v_fmamk_f16 v50, v14, 0x3853, v22
	v_add_f16_e32 v12, v12, v56
	v_fmac_f16_e32 v22, 0xb853, v14
	v_fmamk_f16 v52, v14, 0x3b47, v23
	v_fmac_f16_e32 v23, 0xbb47, v14
	v_mul_f16_e32 v47, 0xbbad, v15
	v_add_f16_e32 v12, v12, v9
	v_fmamk_f16 v53, v14, 0x3beb, v31
	v_fmac_f16_e32 v31, 0xbbeb, v14
	v_fmamk_f16 v54, v14, 0x3a0c, v38
	v_fmac_f16_e32 v38, 0xba0c, v14
	v_add_f16_e32 v12, v12, v10
	v_fmamk_f16 v57, v14, 0x3482, v13
	v_fmac_f16_e32 v13, 0xb482, v14
	v_fmamk_f16 v14, v21, 0x3b47, v41
	v_fmac_f16_e32 v41, 0xbb47, v21
	v_add_f16_e32 v12, v12, v51
	v_fmamk_f16 v58, v21, 0x3a0c, v42
	v_add_f16_e32 v50, v32, v50
	v_add_f16_e32 v22, v32, v22
	;; [unrolled: 1-line block ×4, first 2 shown]
	v_fmac_f16_e32 v42, 0xba0c, v21
	v_add_f16_e32 v52, v32, v52
	v_add_f16_e32 v31, v32, v31
	;; [unrolled: 1-line block ×10, first 2 shown]
	v_mul_f16_e32 v20, 0xb08e, v15
	v_fmamk_f16 v22, v21, 0xb482, v47
	v_fmac_f16_e32 v47, 0x3482, v21
	v_mul_f16_e32 v15, 0x3abb, v15
	v_add_f16_e32 v38, v32, v38
	v_add_f16_e32 v48, v32, v57
	;; [unrolled: 1-line block ×4, first 2 shown]
	v_fmamk_f16 v41, v21, 0xbbeb, v20
	v_add_f16_e32 v31, v47, v31
	v_fmac_f16_e32 v20, 0x3beb, v21
	v_fmamk_f16 v47, v21, 0xb853, v15
	v_sub_f16_e32 v49, v90, v91
	v_mul_f16_e32 v52, 0xb08e, v42
	v_fmac_f16_e32 v15, 0x3853, v21
	v_add_f16_e32 v20, v20, v38
	v_add_f16_e32 v21, v47, v48
	v_mul_f16_e32 v38, 0xbbad, v42
	v_fmamk_f16 v47, v49, 0x3beb, v52
	v_add_f16_e32 v13, v15, v13
	v_mul_f16_e32 v15, 0x36a6, v42
	v_add_f16_e32 v22, v22, v53
	v_fmamk_f16 v48, v49, 0xb482, v38
	v_add_f16_e32 v14, v47, v14
	v_fmac_f16_e32 v38, 0x3482, v49
	v_fmamk_f16 v47, v49, 0xbb47, v15
	v_fmac_f16_e32 v15, 0x3b47, v49
	v_fmac_f16_e32 v52, 0xbbeb, v49
	v_add_f16_e32 v41, v41, v54
	v_add_f16_e32 v23, v38, v23
	v_mul_f16_e32 v38, 0x3abb, v42
	v_add_f16_e32 v15, v15, v31
	v_add_f16_e32 v31, v56, v51
	;; [unrolled: 1-line block ×4, first 2 shown]
	v_mul_f16_e32 v42, 0xb93d, v42
	v_fmamk_f16 v47, v49, 0x3853, v38
	v_fmac_f16_e32 v38, 0xb853, v49
	v_sub_f16_e32 v51, v81, v89
	v_mul_f16_e32 v52, 0xb93d, v31
	v_add_f16_e32 v32, v48, v32
	v_fmamk_f16 v48, v49, 0x3a0c, v42
	v_add_f16_e32 v41, v47, v41
	v_add_f16_e32 v20, v38, v20
	v_fmac_f16_e32 v42, 0xba0c, v49
	v_fmamk_f16 v38, v51, 0x3a0c, v52
	v_mul_f16_e32 v47, 0xb08e, v31
	v_mul_f16_e32 v49, 0xbbad, v31
	v_add_f16_e32 v21, v48, v21
	v_add_f16_e32 v13, v42, v13
	v_mul_f16_e32 v42, 0x3abb, v31
	v_add_f16_e32 v14, v38, v14
	v_fmamk_f16 v38, v51, 0xbbeb, v47
	v_mul_f16_e32 v31, 0x36a6, v31
	v_add_f16_e32 v9, v9, v10
	v_fmamk_f16 v48, v51, 0x3853, v42
	v_fmac_f16_e32 v42, 0xb853, v51
	v_add_f16_e32 v32, v38, v32
	v_fmamk_f16 v38, v51, 0x3482, v49
	v_fmac_f16_e32 v47, 0x3beb, v51
	v_fmac_f16_e32 v49, 0xb482, v51
	v_add_f16_e32 v15, v42, v15
	v_fmamk_f16 v10, v51, 0xbb47, v31
	v_add_f16_e32 v42, v38, v41
	v_sub_f16_e32 v38, v67, v68
	v_mul_f16_e32 v41, 0xbbad, v9
	v_fmac_f16_e32 v52, 0xba0c, v51
	v_add_f16_e32 v23, v47, v23
	v_add_f16_e32 v22, v48, v22
	;; [unrolled: 1-line block ×3, first 2 shown]
	v_fmac_f16_e32 v31, 0x3b47, v51
	v_mul_f16_e32 v20, 0x3abb, v9
	v_add_f16_e32 v48, v10, v21
	v_fmamk_f16 v10, v38, 0x3482, v41
	v_mul_f16_e32 v21, 0xb93d, v9
	v_add_f16_e32 v12, v52, v12
	v_fmac_f16_e32 v41, 0xb482, v38
	v_add_f16_e32 v49, v31, v13
	v_fmamk_f16 v13, v38, 0xb853, v20
	v_add_f16_e32 v51, v10, v14
	v_fmac_f16_e32 v20, 0x3853, v38
	v_fmamk_f16 v10, v38, 0x3a0c, v21
	v_fmac_f16_e32 v21, 0xba0c, v38
	v_mul_f16_e32 v54, 0x36a6, v9
	v_mul_f16_e32 v57, 0xb08e, v9
	v_add_f16_e32 v52, v41, v12
	v_add_f16_e32 v53, v13, v32
	v_add_f16_e32 v56, v20, v23
	v_add_f16_e32 v58, v10, v22
	v_add_f16_e32 v59, v21, v15
	v_fmamk_f16 v60, v38, 0xbb47, v54
	v_fmac_f16_e32 v54, 0x3b47, v38
	v_fmamk_f16 v61, v38, 0x3beb, v57
	v_fmac_f16_e32 v57, 0xbbeb, v38
	global_wb scope:SCOPE_SE
	s_wait_dscnt 0x0
	s_barrier_signal -1
	s_barrier_wait -1
	global_inv scope:SCOPE_SE
	ds_load_u16 v9, v26
	ds_load_u16 v14, v25 offset:1232
	ds_load_u16 v12, v25 offset:1078
	;; [unrolled: 1-line block ×13, first 2 shown]
	v_add_f16_e32 v42, v60, v42
	v_add_f16_e32 v47, v54, v47
	;; [unrolled: 1-line block ×4, first 2 shown]
	global_wb scope:SCOPE_SE
	s_wait_dscnt 0x0
	s_barrier_signal -1
	s_barrier_wait -1
	global_inv scope:SCOPE_SE
	ds_store_b16 v44, v50
	ds_store_b16 v44, v51 offset:4
	ds_store_b16 v44, v53 offset:8
	;; [unrolled: 1-line block ×10, first 2 shown]
	s_and_saveexec_b32 s1, s0
	s_cbranch_execz .LBB0_20
; %bb.19:
	v_add_f16_e32 v42, v30, v11
	v_sub_f16_e32 v44, v46, v55
	v_add_f16_e32 v46, v8, v7
	v_add_f16_e32 v11, v11, v6
	v_sub_f16_e32 v43, v43, v45
	v_add_f16_e32 v8, v42, v8
	v_sub_f16_e32 v39, v39, v40
	v_mul_f16_e32 v49, 0x36a6, v46
	v_mul_f16_e32 v42, 0x3abb, v11
	;; [unrolled: 1-line block ×3, first 2 shown]
	v_add_f16_e32 v8, v8, v4
	v_mul_f16_e32 v47, 0xb08e, v11
	v_mul_f16_e32 v48, 0xb93d, v11
	;; [unrolled: 1-line block ×3, first 2 shown]
	v_fmamk_f16 v52, v44, 0x3853, v42
	v_add_f16_e32 v8, v8, v2
	v_fmac_f16_e32 v42, 0xb853, v44
	v_mul_f16_e32 v50, 0xb93d, v46
	v_fmamk_f16 v53, v44, 0x3b47, v45
	v_fmac_f16_e32 v45, 0xbb47, v44
	v_add_f16_e32 v8, v8, v0
	v_fmamk_f16 v54, v44, 0x3beb, v47
	v_fmac_f16_e32 v47, 0xbbeb, v44
	v_fmamk_f16 v55, v44, 0x3a0c, v48
	v_fmac_f16_e32 v48, 0xba0c, v44
	v_add_f16_e32 v8, v8, v1
	v_fmamk_f16 v56, v44, 0x3482, v11
	v_fmac_f16_e32 v11, 0xb482, v44
	v_fmamk_f16 v44, v43, 0x3b47, v49
	v_fmac_f16_e32 v49, 0xbb47, v43
	v_add_f16_e32 v8, v8, v3
	v_add_f16_e32 v42, v30, v42
	v_fmamk_f16 v57, v43, 0x3a0c, v50
	v_add_f16_e32 v45, v30, v45
	v_fmac_f16_e32 v50, 0xba0c, v43
	v_add_f16_e32 v8, v8, v5
	v_mul_f16_e32 v51, 0xbbad, v46
	v_add_f16_e32 v52, v30, v52
	v_add_f16_e32 v55, v30, v55
	;; [unrolled: 1-line block ×10, first 2 shown]
	v_mul_f16_e32 v42, 0xb08e, v46
	v_mul_f16_e32 v46, 0x3abb, v46
	v_add_f16_e32 v8, v30, v48
	v_add_f16_e32 v48, v30, v56
	;; [unrolled: 1-line block ×3, first 2 shown]
	v_fmamk_f16 v50, v43, 0xbbeb, v42
	v_add_f16_e32 v30, v44, v52
	v_fmamk_f16 v44, v43, 0xb482, v51
	v_fmac_f16_e32 v51, 0x3482, v43
	v_fmac_f16_e32 v42, 0x3beb, v43
	v_add_f16_e32 v5, v50, v55
	v_fmamk_f16 v50, v43, 0xb853, v46
	v_fmac_f16_e32 v46, 0x3853, v43
	v_mul_f16_e32 v43, 0xbbad, v4
	v_mul_f16_e32 v40, 0xb08e, v4
	v_add_f16_e32 v8, v42, v8
	v_add_f16_e32 v42, v50, v48
	;; [unrolled: 1-line block ×3, first 2 shown]
	v_fmamk_f16 v50, v39, 0xb482, v43
	v_fmac_f16_e32 v43, 0x3482, v39
	v_fmamk_f16 v48, v39, 0x3beb, v40
	v_fmac_f16_e32 v40, 0xbbeb, v39
	v_mul_f16_e32 v46, 0x36a6, v4
	v_add_f16_e32 v44, v44, v54
	v_add_f16_e32 v43, v43, v45
	v_mul_f16_e32 v45, 0x3abb, v4
	v_add_f16_e32 v47, v51, v47
	v_add_f16_e32 v7, v40, v7
	v_fmamk_f16 v40, v39, 0xbb47, v46
	v_fmac_f16_e32 v46, 0x3b47, v39
	v_mul_f16_e32 v4, 0xb93d, v4
	v_add_f16_e32 v2, v2, v3
	v_fmamk_f16 v3, v39, 0x3853, v45
	v_fmac_f16_e32 v45, 0xb853, v39
	v_add_f16_e32 v40, v40, v44
	v_add_f16_e32 v44, v46, v47
	v_fmamk_f16 v46, v39, 0x3a0c, v4
	v_sub_f16_e32 v36, v36, v37
	v_mul_f16_e32 v37, 0xb93d, v2
	v_add_f16_e32 v3, v3, v5
	v_add_f16_e32 v5, v45, v8
	v_fmac_f16_e32 v4, 0xba0c, v39
	v_mul_f16_e32 v45, 0xbbad, v2
	v_add_f16_e32 v0, v0, v1
	v_add_f16_e32 v30, v48, v30
	;; [unrolled: 1-line block ×3, first 2 shown]
	v_fmamk_f16 v39, v36, 0x3a0c, v37
	v_mul_f16_e32 v42, 0xb08e, v2
	v_fmac_f16_e32 v37, 0xba0c, v36
	v_add_f16_e32 v4, v4, v11
	v_mul_f16_e32 v11, 0x3abb, v2
	v_fmamk_f16 v1, v36, 0x3482, v45
	v_mul_f16_e32 v2, 0x36a6, v2
	v_sub_f16_e32 v34, v34, v35
	v_mul_f16_e32 v35, 0xbbad, v0
	v_add_f16_e32 v30, v39, v30
	v_fmamk_f16 v39, v36, 0xbbeb, v42
	v_add_f16_e32 v7, v37, v7
	v_fmac_f16_e32 v42, 0x3beb, v36
	v_fmamk_f16 v37, v36, 0x3853, v11
	v_fmac_f16_e32 v11, 0xb853, v36
	v_fmac_f16_e32 v45, 0xb482, v36
	v_add_f16_e32 v1, v1, v3
	v_fmamk_f16 v3, v36, 0xbb47, v2
	v_fmac_f16_e32 v2, 0x3b47, v36
	v_fmamk_f16 v36, v34, 0x3482, v35
	v_mul_u32_u24_e32 v33, 22, v33
	v_add_f16_e32 v49, v57, v53
	v_fmac_f16_e32 v35, 0xb482, v34
	v_add_f16_e32 v2, v2, v4
	v_add_f16_e32 v4, v36, v30
	v_mul_f16_e32 v30, 0xb93d, v0
	v_or_b32_e32 v29, v33, v29
	v_add_f16_e32 v48, v50, v49
	v_add_f16_e32 v37, v37, v40
	v_mul_f16_e32 v40, 0x3abb, v0
	v_add_f16_e32 v11, v11, v44
	v_add_f16_e32 v7, v35, v7
	v_fmamk_f16 v35, v34, 0x3a0c, v30
	v_fmac_f16_e32 v30, 0xba0c, v34
	v_mul_f16_e32 v33, 0x36a6, v0
	v_mul_f16_e32 v0, 0xb08e, v0
	v_lshlrev_b32_e32 v29, 1, v29
	v_add_f16_e32 v39, v39, v48
	v_add_f16_e32 v3, v3, v8
	v_fmamk_f16 v8, v34, 0xb853, v40
	v_add_f16_e32 v11, v30, v11
	v_fmamk_f16 v30, v34, 0xbb47, v33
	v_add_f16_e32 v42, v42, v43
	v_add_f16_e32 v5, v45, v5
	v_fmac_f16_e32 v40, 0x3853, v34
	v_add_f16_e32 v35, v35, v37
	v_fmac_f16_e32 v33, 0x3b47, v34
	v_fmamk_f16 v37, v34, 0x3beb, v0
	v_fmac_f16_e32 v0, 0xbbeb, v34
	v_add3_u32 v29, 0, v29, v28
	v_add_f16_e32 v8, v8, v39
	v_add_f16_e32 v1, v30, v1
	;; [unrolled: 1-line block ×6, first 2 shown]
	ds_store_b16 v29, v6
	ds_store_b16 v29, v4 offset:4
	ds_store_b16 v29, v8 offset:8
	;; [unrolled: 1-line block ×10, first 2 shown]
.LBB0_20:
	s_wait_alu 0xfffe
	s_or_b32 exec_lo, exec_lo, s1
	v_lshrrev_b16 v0, 1, v24
	v_lshrrev_b16 v1, 1, v27
	global_wb scope:SCOPE_SE
	s_wait_dscnt 0x0
	s_barrier_signal -1
	s_barrier_wait -1
	v_and_b32_e32 v0, 0x7f, v0
	v_and_b32_e32 v1, 0x7f, v1
	global_inv scope:SCOPE_SE
	v_mul_lo_u16 v0, 0xbb, v0
	s_delay_alu instid0(VALU_DEP_1) | instskip(SKIP_1) | instid1(VALU_DEP_2)
	v_lshrrev_b16 v8, 11, v0
	v_mul_lo_u16 v0, 0xbb, v1
	v_mul_lo_u16 v1, v8, 22
	s_delay_alu instid0(VALU_DEP_2) | instskip(SKIP_1) | instid1(VALU_DEP_3)
	v_lshrrev_b16 v11, 11, v0
	v_and_b32_e32 v8, 0xffff, v8
	v_sub_nc_u16 v0, v24, v1
	s_delay_alu instid0(VALU_DEP_3) | instskip(SKIP_1) | instid1(VALU_DEP_4)
	v_mul_lo_u16 v1, v11, 22
	v_and_b32_e32 v11, 0xffff, v11
	v_mad_u32_u24 v8, 0x134, v8, 0
	s_delay_alu instid0(VALU_DEP_4) | instskip(NEXT) | instid1(VALU_DEP_4)
	v_and_b32_e32 v35, 0xff, v0
	v_sub_nc_u16 v0, v27, v1
	s_delay_alu instid0(VALU_DEP_4) | instskip(NEXT) | instid1(VALU_DEP_3)
	v_mad_u32_u24 v11, 0x134, v11, 0
	v_mul_u32_u24_e32 v1, 6, v35
	s_delay_alu instid0(VALU_DEP_3) | instskip(SKIP_1) | instid1(VALU_DEP_3)
	v_and_b32_e32 v36, 0xff, v0
	v_lshlrev_b32_e32 v35, 1, v35
	v_lshlrev_b32_e32 v4, 2, v1
	s_delay_alu instid0(VALU_DEP_3) | instskip(SKIP_1) | instid1(VALU_DEP_4)
	v_mul_u32_u24_e32 v5, 6, v36
	v_lshlrev_b32_e32 v36, 1, v36
	v_add3_u32 v35, v8, v35, v28
	global_load_b128 v[0:3], v4, s[8:9] offset:80
	v_lshlrev_b32_e32 v33, 2, v5
	v_add3_u32 v28, v11, v36, v28
	s_clause 0x2
	global_load_b64 v[29:30], v4, s[8:9] offset:96
	global_load_b128 v[4:7], v33, s[8:9] offset:80
	global_load_b64 v[33:34], v33, s[8:9] offset:96
	ds_load_u16 v37, v26
	ds_load_u16 v39, v25 offset:1232
	ds_load_u16 v40, v25 offset:1078
	;; [unrolled: 1-line block ×13, first 2 shown]
	global_wb scope:SCOPE_SE
	s_wait_loadcnt_dscnt 0x0
	s_barrier_signal -1
	s_barrier_wait -1
	global_inv scope:SCOPE_SE
	v_lshrrev_b32_e32 v8, 16, v0
	v_lshrrev_b32_e32 v11, 16, v1
	;; [unrolled: 1-line block ×12, first 2 shown]
	v_mul_f16_e32 v62, v46, v8
	v_mul_f16_e32 v8, v41, v8
	;; [unrolled: 1-line block ×24, first 2 shown]
	v_fmac_f16_e32 v62, v41, v0
	v_fma_f16 v0, v46, v0, -v8
	v_fmac_f16_e32 v63, v32, v1
	v_fma_f16 v1, v44, v1, -v11
	v_fmac_f16_e32 v66, v38, v29
	v_fmac_f16_e32 v67, v31, v30
	v_fma_f16 v11, v49, v30, -v55
	v_fmac_f16_e32 v64, v23, v2
	v_fma_f16 v2, v42, v2, -v36
	;; [unrolled: 2-line block ×3, first 2 shown]
	v_fma_f16 v8, v51, v29, -v54
	v_fmac_f16_e32 v68, v21, v4
	v_fma_f16 v4, v45, v4, -v56
	v_fmac_f16_e32 v69, v15, v5
	;; [unrolled: 2-line block ×3, first 2 shown]
	v_fmac_f16_e32 v72, v20, v33
	v_fma_f16 v12, v50, v33, -v60
	v_fmac_f16_e32 v73, v13, v34
	v_fma_f16 v13, v48, v34, -v61
	v_fma_f16 v6, v40, v6, -v58
	v_fmac_f16_e32 v71, v22, v7
	v_fma_f16 v7, v52, v7, -v59
	v_add_f16_e32 v14, v62, v67
	v_add_f16_e32 v15, v0, v11
	v_sub_f16_e32 v0, v0, v11
	v_add_f16_e32 v11, v63, v66
	v_add_f16_e32 v21, v1, v8
	v_sub_f16_e32 v22, v63, v66
	v_sub_f16_e32 v1, v1, v8
	v_add_f16_e32 v8, v64, v65
	v_add_f16_e32 v23, v2, v3
	v_sub_f16_e32 v29, v65, v64
	;; [unrolled: 4-line block ×3, first 2 shown]
	v_add_f16_e32 v13, v69, v72
	v_add_f16_e32 v32, v5, v12
	v_sub_f16_e32 v5, v5, v12
	v_add_f16_e32 v12, v70, v71
	v_add_f16_e32 v34, v6, v7
	v_sub_f16_e32 v6, v7, v6
	v_add_f16_e32 v7, v11, v14
	v_sub_f16_e32 v20, v62, v67
	v_sub_f16_e32 v31, v68, v73
	;; [unrolled: 1-line block ×4, first 2 shown]
	v_add_f16_e32 v38, v21, v15
	v_sub_f16_e32 v39, v11, v14
	v_sub_f16_e32 v40, v21, v15
	;; [unrolled: 1-line block ×6, first 2 shown]
	v_add_f16_e32 v41, v29, v22
	v_add_f16_e32 v42, v2, v1
	v_sub_f16_e32 v43, v29, v22
	v_sub_f16_e32 v44, v2, v1
	;; [unrolled: 1-line block ×3, first 2 shown]
	v_add_f16_e32 v45, v13, v3
	v_add_f16_e32 v46, v32, v30
	v_sub_f16_e32 v48, v13, v3
	v_sub_f16_e32 v13, v12, v13
	v_add_f16_e32 v51, v6, v5
	v_sub_f16_e32 v53, v6, v5
	v_sub_f16_e32 v5, v5, v4
	;; [unrolled: 3-line block ×3, first 2 shown]
	v_sub_f16_e32 v2, v0, v2
	v_sub_f16_e32 v49, v32, v30
	;; [unrolled: 1-line block ×5, first 2 shown]
	v_add_f16_e32 v50, v36, v33
	v_sub_f16_e32 v52, v36, v33
	v_sub_f16_e32 v33, v33, v31
	v_add_f16_e32 v8, v23, v38
	v_add_f16_e32 v20, v41, v20
	;; [unrolled: 1-line block ×3, first 2 shown]
	v_mul_f16_e32 v14, 0x3a52, v14
	v_mul_f16_e32 v15, 0x3a52, v15
	;; [unrolled: 1-line block ×7, first 2 shown]
	v_add_f16_e32 v12, v12, v45
	v_add_f16_e32 v34, v34, v46
	v_sub_f16_e32 v6, v4, v6
	v_add_f16_e32 v4, v51, v4
	v_mul_f16_e32 v45, 0x2b26, v13
	v_mul_f16_e32 v51, 0x3846, v53
	v_mul_f16_e32 v53, 0xbb00, v5
	v_add_f16_e32 v9, v9, v7
	v_mul_f16_e32 v43, 0xbb00, v22
	v_sub_f16_e32 v36, v31, v36
	v_add_f16_e32 v31, v50, v31
	v_mul_f16_e32 v3, 0x3a52, v3
	v_mul_f16_e32 v30, 0x3a52, v30
	v_mul_f16_e32 v46, 0x2b26, v32
	v_mul_f16_e32 v50, 0x3846, v52
	v_mul_f16_e32 v52, 0xbb00, v33
	v_add_f16_e32 v37, v37, v8
	v_fmamk_f16 v11, v11, 0x2b26, v14
	v_fmamk_f16 v21, v21, 0x2b26, v15
	v_fma_f16 v23, v39, 0x39e0, -v23
	v_fma_f16 v38, v40, 0x39e0, -v38
	v_fma_f16 v14, v39, 0xb9e0, -v14
	v_fma_f16 v15, v40, 0xb9e0, -v15
	v_fmamk_f16 v39, v29, 0xb574, v41
	v_fmamk_f16 v40, v2, 0xb574, v42
	v_fma_f16 v22, v22, 0xbb00, -v41
	v_fma_f16 v1, v1, 0xbb00, -v42
	;; [unrolled: 1-line block ×3, first 2 shown]
	v_add_f16_e32 v10, v10, v12
	v_add_f16_e32 v41, v47, v34
	v_fma_f16 v42, v48, 0x39e0, -v45
	v_fmamk_f16 v45, v6, 0xb574, v51
	v_fma_f16 v5, v5, 0xbb00, -v51
	v_fma_f16 v6, v6, 0x3574, -v53
	v_fmamk_f16 v7, v7, 0xbcab, v9
	v_fma_f16 v29, v29, 0x3574, -v43
	v_fmamk_f16 v13, v13, 0x2b26, v3
	v_fmamk_f16 v32, v32, 0x2b26, v30
	v_fma_f16 v43, v49, 0x39e0, -v46
	v_fma_f16 v3, v48, 0xb9e0, -v3
	;; [unrolled: 1-line block ×3, first 2 shown]
	v_fmamk_f16 v44, v36, 0xb574, v50
	v_fma_f16 v33, v33, 0xbb00, -v50
	v_fma_f16 v36, v36, 0x3574, -v52
	v_fmamk_f16 v8, v8, 0xbcab, v37
	v_fmac_f16_e32 v40, 0xb70e, v0
	v_fmac_f16_e32 v1, 0xb70e, v0
	v_fmac_f16_e32 v2, 0xb70e, v0
	v_fmamk_f16 v0, v12, 0xbcab, v10
	v_fmamk_f16 v12, v34, 0xbcab, v41
	v_fmac_f16_e32 v45, 0xb70e, v4
	v_fmac_f16_e32 v5, 0xb70e, v4
	;; [unrolled: 1-line block ×3, first 2 shown]
	v_add_f16_e32 v4, v11, v7
	v_fmac_f16_e32 v39, 0xb70e, v20
	v_fmac_f16_e32 v22, 0xb70e, v20
	;; [unrolled: 1-line block ×3, first 2 shown]
	v_add_f16_e32 v20, v23, v7
	v_add_f16_e32 v7, v14, v7
	v_fmac_f16_e32 v33, 0xb70e, v31
	v_fmac_f16_e32 v36, 0xb70e, v31
	v_add_f16_e32 v11, v21, v8
	v_add_f16_e32 v21, v38, v8
	;; [unrolled: 1-line block ×10, first 2 shown]
	v_fmac_f16_e32 v44, 0xb70e, v31
	v_add_f16_e32 v31, v2, v7
	v_sub_f16_e32 v34, v20, v1
	v_sub_f16_e32 v30, v11, v39
	;; [unrolled: 1-line block ×3, first 2 shown]
	v_add_f16_e32 v38, v22, v21
	v_add_f16_e32 v1, v1, v20
	v_sub_f16_e32 v20, v21, v22
	v_sub_f16_e32 v2, v7, v2
	v_add_f16_e32 v21, v29, v8
	v_sub_f16_e32 v4, v4, v40
	v_add_f16_e32 v22, v39, v11
	v_add_f16_e32 v7, v45, v13
	v_add_f16_e32 v8, v6, v0
	v_sub_f16_e32 v39, v3, v36
	v_sub_f16_e32 v11, v15, v5
	v_add_f16_e32 v40, v33, v23
	v_add_f16_e32 v5, v5, v15
	v_sub_f16_e32 v15, v23, v33
	v_sub_f16_e32 v0, v0, v6
	v_add_f16_e32 v23, v36, v3
	v_sub_f16_e32 v3, v13, v45
	ds_store_b16 v35, v9
	ds_store_b16 v35, v12 offset:44
	ds_store_b16 v35, v31 offset:88
	ds_store_b16 v35, v34 offset:132
	ds_store_b16 v35, v1 offset:176
	ds_store_b16 v35, v2 offset:220
	ds_store_b16 v35, v4 offset:264
	ds_store_b16 v28, v10
	ds_store_b16 v28, v7 offset:44
	ds_store_b16 v28, v8 offset:88
	;; [unrolled: 1-line block ×6, first 2 shown]
	global_wb scope:SCOPE_SE
	s_wait_dscnt 0x0
	s_barrier_signal -1
	s_barrier_wait -1
	global_inv scope:SCOPE_SE
	ds_load_u16 v0, v26
	ds_load_u16 v2, v25 offset:1232
	ds_load_u16 v9, v25 offset:1078
	;; [unrolled: 1-line block ×13, first 2 shown]
	v_sub_f16_e32 v29, v14, v44
	v_add_f16_e32 v14, v44, v14
	global_wb scope:SCOPE_SE
	s_wait_dscnt 0x0
	s_barrier_signal -1
	s_barrier_wait -1
	global_inv scope:SCOPE_SE
	ds_store_b16 v35, v37
	ds_store_b16 v35, v30 offset:44
	ds_store_b16 v35, v32 offset:88
	;; [unrolled: 1-line block ×6, first 2 shown]
	ds_store_b16 v28, v41
	ds_store_b16 v28, v29 offset:44
	ds_store_b16 v28, v39 offset:88
	;; [unrolled: 1-line block ×6, first 2 shown]
	global_wb scope:SCOPE_SE
	s_wait_dscnt 0x0
	s_barrier_signal -1
	s_barrier_wait -1
	global_inv scope:SCOPE_SE
	s_and_saveexec_b32 s0, vcc_lo
	s_cbranch_execz .LBB0_22
; %bb.21:
	v_mul_u32_u24_e32 v14, 6, v27
	v_mul_u32_u24_e32 v27, 6, v24
	v_add_nc_u32_e32 v33, 0x4d, v24
	v_mul_hi_u32 v37, 0x3531dec1, v24
	v_mul_lo_u32 v34, s3, v18
	v_lshlrev_b32_e32 v14, 2, v14
	v_lshlrev_b32_e32 v31, 2, v27
	v_mul_hi_u32 v36, 0x3531dec1, v33
	v_mul_lo_u32 v35, s2, v19
	v_mad_co_u64_u32 v[18:19], null, s2, v18, 0
	s_clause 0x3
	global_load_b128 v[20:23], v14, s[8:9] offset:608
	global_load_b64 v[14:15], v14, s[8:9] offset:624
	global_load_b128 v[27:30], v31, s[8:9] offset:608
	global_load_b64 v[31:32], v31, s[8:9] offset:624
	v_lshrrev_b32_e32 v37, 5, v37
	v_lshrrev_b32_e32 v36, 5, v36
	ds_load_u16 v43, v25 offset:1078
	ds_load_u16 v44, v25 offset:924
	v_add3_u32 v19, v19, v35, v34
	ds_load_u16 v45, v25 offset:770
	ds_load_u16 v46, v25 offset:616
	;; [unrolled: 1-line block ×4, first 2 shown]
	v_mul_lo_u32 v37, 0x9a, v37
	v_mul_lo_u32 v38, 0x9a, v36
	ds_load_u16 v49, v25 offset:2002
	ds_load_u16 v50, v25 offset:1848
	;; [unrolled: 1-line block ×7, first 2 shown]
	ds_load_u16 v56, v26
	v_mov_b32_e32 v26, 0
	v_lshlrev_b64_e32 v[18:19], 2, v[18:19]
	v_lshlrev_b64_e32 v[16:17], 2, v[16:17]
	v_sub_nc_u32_e32 v25, v33, v38
	v_sub_nc_u32_e32 v33, v24, v37
	s_delay_alu instid0(VALU_DEP_4) | instskip(NEXT) | instid1(VALU_DEP_3)
	v_add_co_u32 v18, vcc_lo, s6, v18
	v_mad_co_u64_u32 v[24:25], null, 0x436, v36, v[25:26]
	s_wait_alu 0xfffd
	v_add_co_ci_u32_e32 v19, vcc_lo, s7, v19, vcc_lo
	v_mov_b32_e32 v25, v26
	v_add_co_u32 v57, vcc_lo, v18, v16
	v_lshlrev_b32_e32 v33, 2, v33
	s_wait_alu 0xfffd
	v_add_co_ci_u32_e32 v58, vcc_lo, v19, v17, vcc_lo
	v_lshlrev_b64_e32 v[16:17], 2, v[24:25]
	v_add_nc_u32_e32 v25, 0x9a, v24
	v_add_co_u32 v18, vcc_lo, v57, v33
	s_wait_alu 0xfffd
	v_add_co_ci_u32_e32 v19, vcc_lo, 0, v58, vcc_lo
	s_delay_alu instid0(VALU_DEP_3) | instskip(SKIP_4) | instid1(VALU_DEP_3)
	v_lshlrev_b64_e32 v[33:34], 2, v[25:26]
	v_add_nc_u32_e32 v25, 0x134, v24
	v_add_co_u32 v16, vcc_lo, v57, v16
	s_wait_alu 0xfffd
	v_add_co_ci_u32_e32 v17, vcc_lo, v58, v17, vcc_lo
	v_lshlrev_b64_e32 v[35:36], 2, v[25:26]
	v_add_nc_u32_e32 v25, 0x1ce, v24
	v_add_co_u32 v33, vcc_lo, v57, v33
	s_wait_alu 0xfffd
	v_add_co_ci_u32_e32 v34, vcc_lo, v58, v34, vcc_lo
	s_delay_alu instid0(VALU_DEP_3) | instskip(SKIP_4) | instid1(VALU_DEP_3)
	v_lshlrev_b64_e32 v[37:38], 2, v[25:26]
	v_add_nc_u32_e32 v25, 0x268, v24
	v_add_co_u32 v35, vcc_lo, v57, v35
	;; [unrolled: 11-line block ×3, first 2 shown]
	s_wait_alu 0xfffd
	v_add_co_ci_u32_e32 v40, vcc_lo, v58, v40, vcc_lo
	v_lshlrev_b64_e32 v[24:25], 2, v[25:26]
	v_add_co_u32 v41, vcc_lo, v57, v41
	s_wait_alu 0xfffd
	v_add_co_ci_u32_e32 v42, vcc_lo, v58, v42, vcc_lo
	s_delay_alu instid0(VALU_DEP_3)
	v_add_co_u32 v24, vcc_lo, v57, v24
	s_wait_alu 0xfffd
	v_add_co_ci_u32_e32 v25, vcc_lo, v58, v25, vcc_lo
	s_wait_loadcnt 0x3
	v_lshrrev_b32_e32 v26, 16, v20
	v_lshrrev_b32_e32 v57, 16, v21
	;; [unrolled: 1-line block ×4, first 2 shown]
	v_mul_f16_e32 v60, v10, v20
	s_wait_loadcnt 0x2
	v_lshrrev_b32_e32 v61, 16, v14
	v_lshrrev_b32_e32 v62, 16, v15
	v_mul_f16_e32 v63, v12, v15
	v_mul_f16_e32 v64, v13, v23
	;; [unrolled: 1-line block ×5, first 2 shown]
	s_wait_loadcnt 0x1
	v_lshrrev_b32_e32 v68, 16, v27
	v_lshrrev_b32_e32 v69, 16, v28
	;; [unrolled: 1-line block ×4, first 2 shown]
	v_mul_f16_e32 v72, v5, v27
	s_wait_loadcnt 0x0
	v_lshrrev_b32_e32 v73, 16, v31
	v_lshrrev_b32_e32 v74, 16, v32
	v_mul_f16_e32 v75, v8, v32
	v_mul_f16_e32 v76, v2, v30
	;; [unrolled: 1-line block ×5, first 2 shown]
	s_wait_dscnt 0x9
	v_fmac_f16_e32 v60, v47, v26
	s_wait_dscnt 0x7
	v_fmac_f16_e32 v63, v49, v62
	;; [unrolled: 2-line block ×3, first 2 shown]
	v_fmac_f16_e32 v65, v43, v58
	v_fmac_f16_e32 v66, v45, v57
	;; [unrolled: 1-line block ×3, first 2 shown]
	v_mul_f16_e32 v12, v12, v62
	v_mul_f16_e32 v10, v10, v26
	;; [unrolled: 1-line block ×6, first 2 shown]
	v_fmac_f16_e32 v72, v48, v68
	v_fmac_f16_e32 v75, v50, v74
	s_wait_dscnt 0x2
	v_fmac_f16_e32 v76, v54, v71
	v_fmac_f16_e32 v77, v44, v70
	;; [unrolled: 1-line block ×4, first 2 shown]
	v_mul_f16_e32 v8, v8, v74
	v_mul_f16_e32 v5, v5, v68
	;; [unrolled: 1-line block ×6, first 2 shown]
	v_sub_f16_e32 v26, v60, v63
	v_sub_f16_e32 v57, v64, v65
	;; [unrolled: 1-line block ×3, first 2 shown]
	v_fma_f16 v12, v49, v15, -v12
	v_fma_f16 v10, v47, v20, -v10
	v_fma_f16 v9, v43, v22, -v9
	v_fma_f16 v13, v53, v23, -v13
	v_fma_f16 v11, v51, v14, -v11
	v_fma_f16 v7, v45, v21, -v7
	v_add_f16_e32 v14, v60, v63
	v_add_f16_e32 v15, v64, v65
	;; [unrolled: 1-line block ×3, first 2 shown]
	v_sub_f16_e32 v21, v72, v75
	v_sub_f16_e32 v22, v76, v77
	;; [unrolled: 1-line block ×3, first 2 shown]
	v_fma_f16 v8, v50, v32, -v8
	v_fma_f16 v5, v48, v27, -v5
	;; [unrolled: 1-line block ×6, first 2 shown]
	v_add_f16_e32 v27, v72, v75
	v_add_f16_e32 v28, v76, v77
	;; [unrolled: 1-line block ×3, first 2 shown]
	v_sub_f16_e32 v31, v57, v58
	v_add_f16_e32 v32, v57, v58
	v_add_f16_e32 v43, v10, v12
	;; [unrolled: 1-line block ×4, first 2 shown]
	v_sub_f16_e32 v46, v14, v15
	v_sub_f16_e32 v47, v15, v20
	v_add_f16_e32 v48, v14, v20
	v_sub_f16_e32 v10, v10, v12
	v_sub_f16_e32 v9, v13, v9
	;; [unrolled: 1-line block ×7, first 2 shown]
	v_add_f16_e32 v20, v22, v23
	v_add_f16_e32 v22, v5, v8
	;; [unrolled: 1-line block ×3, first 2 shown]
	v_sub_f16_e32 v30, v26, v57
	v_add_f16_e32 v49, v2, v4
	v_sub_f16_e32 v51, v27, v28
	v_sub_f16_e32 v52, v28, v29
	v_add_f16_e32 v53, v27, v29
	v_sub_f16_e32 v5, v5, v8
	v_sub_f16_e32 v2, v2, v4
	;; [unrolled: 1-line block ×5, first 2 shown]
	v_mul_f16_e32 v8, 0x3846, v31
	v_add_f16_e32 v23, v26, v32
	v_sub_f16_e32 v27, v44, v45
	v_add_f16_e32 v29, v43, v45
	v_mul_f16_e32 v31, 0x3a52, v46
	v_mul_f16_e32 v32, 0x2b26, v47
	v_add_f16_e32 v15, v15, v48
	v_sub_f16_e32 v47, v10, v9
	v_sub_f16_e32 v48, v9, v7
	v_add_f16_e32 v9, v9, v7
	v_mul_f16_e32 v54, 0xbb00, v11
	v_sub_f16_e32 v7, v7, v10
	v_add_f16_e32 v57, v22, v50
	v_sub_f16_e32 v26, v43, v44
	v_sub_f16_e32 v43, v45, v43
	v_mul_f16_e32 v14, 0x3846, v14
	v_add_f16_e32 v20, v21, v20
	v_sub_f16_e32 v21, v22, v49
	v_sub_f16_e32 v45, v49, v50
	v_mul_f16_e32 v58, 0x3a52, v51
	v_mul_f16_e32 v52, 0x2b26, v52
	v_add_f16_e32 v28, v28, v53
	v_sub_f16_e32 v53, v5, v2
	v_sub_f16_e32 v59, v2, v3
	v_add_f16_e32 v2, v2, v3
	v_mul_f16_e32 v60, 0xbb00, v4
	v_sub_f16_e32 v22, v50, v22
	v_sub_f16_e32 v3, v3, v5
	v_fmamk_f16 v50, v30, 0xb574, v8
	v_mul_f16_e32 v27, 0x2b26, v27
	v_add_f16_e32 v29, v44, v29
	v_fmamk_f16 v44, v46, 0x3a52, v32
	v_add_f16_e32 v1, v1, v15
	v_mul_f16_e32 v46, 0x3846, v48
	v_add_f16_e32 v9, v10, v9
	v_fma_f16 v10, v30, 0x3574, -v54
	v_fma_f16 v30, v12, 0xb9e0, -v31
	v_mul_f16_e32 v31, 0xbb00, v7
	v_fma_f16 v8, v11, 0xbb00, -v8
	v_add_f16_e32 v48, v49, v57
	v_mul_f16_e32 v61, 0x3a52, v26
	v_fma_f16 v11, v12, 0x39e0, -v32
	v_fmamk_f16 v12, v13, 0xb574, v14
	v_mul_f16_e32 v45, 0x2b26, v45
	v_fmamk_f16 v49, v51, 0x3a52, v52
	v_add_f16_e32 v0, v0, v28
	v_mul_f16_e32 v51, 0x3846, v59
	v_add_f16_e32 v2, v5, v2
	v_fma_f16 v5, v13, 0x3574, -v60
	v_fma_f16 v13, v6, 0xb9e0, -v58
	v_mul_f16_e32 v54, 0xbb00, v3
	v_fma_f16 v4, v4, 0xbb00, -v14
	v_fma_f16 v6, v6, 0x39e0, -v52
	v_fmac_f16_e32 v50, 0xb70e, v23
	v_fmamk_f16 v14, v26, 0x3a52, v27
	s_wait_dscnt 0x1
	v_add_f16_e32 v26, v55, v29
	v_fmamk_f16 v15, v15, 0xbcab, v1
	v_fmamk_f16 v52, v47, 0xb574, v46
	v_fmac_f16_e32 v10, 0xb70e, v23
	v_fma_f16 v31, v47, 0x3574, -v31
	v_fmac_f16_e32 v8, 0xb70e, v23
	v_fma_f16 v7, v7, 0xbb00, -v46
	s_wait_dscnt 0x0
	v_add_f16_e32 v23, v56, v48
	v_mul_f16_e32 v32, 0x3a52, v21
	v_fma_f16 v55, v43, 0xb9e0, -v61
	v_fma_f16 v27, v43, 0x39e0, -v27
	v_fmac_f16_e32 v12, 0xb70e, v20
	v_fmamk_f16 v21, v21, 0x3a52, v45
	v_fmamk_f16 v28, v28, 0xbcab, v0
	;; [unrolled: 1-line block ×3, first 2 shown]
	v_fmac_f16_e32 v5, 0xb70e, v20
	v_fma_f16 v46, v53, 0x3574, -v54
	v_fmac_f16_e32 v4, 0xb70e, v20
	v_fma_f16 v3, v3, 0xbb00, -v51
	v_fmamk_f16 v20, v29, 0xbcab, v26
	v_fmac_f16_e32 v52, 0xb70e, v9
	v_fmac_f16_e32 v31, 0xb70e, v9
	;; [unrolled: 1-line block ×3, first 2 shown]
	v_add_f16_e32 v9, v11, v15
	v_fmamk_f16 v11, v48, 0xbcab, v23
	v_fma_f16 v32, v22, 0xb9e0, -v32
	v_add_f16_e32 v30, v30, v15
	v_fma_f16 v22, v22, 0x39e0, -v45
	v_add_f16_e32 v29, v44, v15
	v_add_f16_e32 v15, v49, v28
	v_fmac_f16_e32 v43, 0xb70e, v2
	v_add_f16_e32 v13, v13, v28
	v_fmac_f16_e32 v46, 0xb70e, v2
	v_fmac_f16_e32 v3, 0xb70e, v2
	v_add_f16_e32 v2, v6, v28
	v_pack_b32_f16 v0, v0, v23
	v_add_f16_e32 v6, v14, v20
	v_add_f16_e32 v23, v55, v20
	;; [unrolled: 1-line block ×4, first 2 shown]
	v_pack_b32_f16 v1, v1, v26
	v_sub_f16_e32 v26, v30, v31
	v_add_f16_e32 v27, v7, v9
	v_sub_f16_e32 v7, v9, v7
	v_add_f16_e32 v9, v31, v30
	v_add_f16_e32 v30, v32, v11
	;; [unrolled: 1-line block ×3, first 2 shown]
	v_sub_f16_e32 v14, v29, v52
	v_add_f16_e32 v28, v52, v29
	v_sub_f16_e32 v29, v15, v43
	v_sub_f16_e32 v31, v13, v46
	v_add_f16_e32 v22, v3, v2
	v_sub_f16_e32 v2, v2, v3
	v_add_f16_e32 v3, v46, v13
	v_add_f16_e32 v13, v43, v15
	v_sub_f16_e32 v43, v20, v8
	v_add_f16_e32 v8, v8, v20
	v_add_f16_e32 v20, v12, v21
	v_sub_f16_e32 v12, v21, v12
	v_sub_f16_e32 v21, v30, v5
	v_add_f16_e32 v32, v10, v23
	v_sub_f16_e32 v10, v23, v10
	v_add_f16_e32 v23, v4, v11
	;; [unrolled: 2-line block ×4, first 2 shown]
	v_pack_b32_f16 v11, v13, v12
	v_pack_b32_f16 v3, v3, v21
	;; [unrolled: 1-line block ×12, first 2 shown]
	s_clause 0xd
	global_store_b32 v[18:19], v0, off
	global_store_b32 v[18:19], v11, off offset:616
	global_store_b32 v[18:19], v3, off offset:1232
	;; [unrolled: 1-line block ×6, first 2 shown]
	global_store_b32 v[16:17], v1, off
	global_store_b32 v[33:34], v6, off
	;; [unrolled: 1-line block ×7, first 2 shown]
.LBB0_22:
	s_nop 0
	s_sendmsg sendmsg(MSG_DEALLOC_VGPRS)
	s_endpgm
	.section	.rodata,"a",@progbits
	.p2align	6, 0x0
	.amdhsa_kernel fft_rtc_back_len1078_factors_2_11_7_7_wgs_231_tpt_77_halfLds_half_op_CI_CI_unitstride_sbrr_dirReg
		.amdhsa_group_segment_fixed_size 0
		.amdhsa_private_segment_fixed_size 0
		.amdhsa_kernarg_size 104
		.amdhsa_user_sgpr_count 2
		.amdhsa_user_sgpr_dispatch_ptr 0
		.amdhsa_user_sgpr_queue_ptr 0
		.amdhsa_user_sgpr_kernarg_segment_ptr 1
		.amdhsa_user_sgpr_dispatch_id 0
		.amdhsa_user_sgpr_private_segment_size 0
		.amdhsa_wavefront_size32 1
		.amdhsa_uses_dynamic_stack 0
		.amdhsa_enable_private_segment 0
		.amdhsa_system_sgpr_workgroup_id_x 1
		.amdhsa_system_sgpr_workgroup_id_y 0
		.amdhsa_system_sgpr_workgroup_id_z 0
		.amdhsa_system_sgpr_workgroup_info 0
		.amdhsa_system_vgpr_workitem_id 0
		.amdhsa_next_free_vgpr 116
		.amdhsa_next_free_sgpr 39
		.amdhsa_reserve_vcc 1
		.amdhsa_float_round_mode_32 0
		.amdhsa_float_round_mode_16_64 0
		.amdhsa_float_denorm_mode_32 3
		.amdhsa_float_denorm_mode_16_64 3
		.amdhsa_fp16_overflow 0
		.amdhsa_workgroup_processor_mode 1
		.amdhsa_memory_ordered 1
		.amdhsa_forward_progress 0
		.amdhsa_round_robin_scheduling 0
		.amdhsa_exception_fp_ieee_invalid_op 0
		.amdhsa_exception_fp_denorm_src 0
		.amdhsa_exception_fp_ieee_div_zero 0
		.amdhsa_exception_fp_ieee_overflow 0
		.amdhsa_exception_fp_ieee_underflow 0
		.amdhsa_exception_fp_ieee_inexact 0
		.amdhsa_exception_int_div_zero 0
	.end_amdhsa_kernel
	.text
.Lfunc_end0:
	.size	fft_rtc_back_len1078_factors_2_11_7_7_wgs_231_tpt_77_halfLds_half_op_CI_CI_unitstride_sbrr_dirReg, .Lfunc_end0-fft_rtc_back_len1078_factors_2_11_7_7_wgs_231_tpt_77_halfLds_half_op_CI_CI_unitstride_sbrr_dirReg
                                        ; -- End function
	.section	.AMDGPU.csdata,"",@progbits
; Kernel info:
; codeLenInByte = 12052
; NumSgprs: 41
; NumVgprs: 116
; ScratchSize: 0
; MemoryBound: 0
; FloatMode: 240
; IeeeMode: 1
; LDSByteSize: 0 bytes/workgroup (compile time only)
; SGPRBlocks: 5
; VGPRBlocks: 14
; NumSGPRsForWavesPerEU: 41
; NumVGPRsForWavesPerEU: 116
; Occupancy: 12
; WaveLimiterHint : 1
; COMPUTE_PGM_RSRC2:SCRATCH_EN: 0
; COMPUTE_PGM_RSRC2:USER_SGPR: 2
; COMPUTE_PGM_RSRC2:TRAP_HANDLER: 0
; COMPUTE_PGM_RSRC2:TGID_X_EN: 1
; COMPUTE_PGM_RSRC2:TGID_Y_EN: 0
; COMPUTE_PGM_RSRC2:TGID_Z_EN: 0
; COMPUTE_PGM_RSRC2:TIDIG_COMP_CNT: 0
	.text
	.p2alignl 7, 3214868480
	.fill 96, 4, 3214868480
	.type	__hip_cuid_e6d8fca18b788f1a,@object ; @__hip_cuid_e6d8fca18b788f1a
	.section	.bss,"aw",@nobits
	.globl	__hip_cuid_e6d8fca18b788f1a
__hip_cuid_e6d8fca18b788f1a:
	.byte	0                               ; 0x0
	.size	__hip_cuid_e6d8fca18b788f1a, 1

	.ident	"AMD clang version 19.0.0git (https://github.com/RadeonOpenCompute/llvm-project roc-6.4.0 25133 c7fe45cf4b819c5991fe208aaa96edf142730f1d)"
	.section	".note.GNU-stack","",@progbits
	.addrsig
	.addrsig_sym __hip_cuid_e6d8fca18b788f1a
	.amdgpu_metadata
---
amdhsa.kernels:
  - .args:
      - .actual_access:  read_only
        .address_space:  global
        .offset:         0
        .size:           8
        .value_kind:     global_buffer
      - .offset:         8
        .size:           8
        .value_kind:     by_value
      - .actual_access:  read_only
        .address_space:  global
        .offset:         16
        .size:           8
        .value_kind:     global_buffer
      - .actual_access:  read_only
        .address_space:  global
        .offset:         24
        .size:           8
        .value_kind:     global_buffer
      - .actual_access:  read_only
        .address_space:  global
        .offset:         32
        .size:           8
        .value_kind:     global_buffer
      - .offset:         40
        .size:           8
        .value_kind:     by_value
      - .actual_access:  read_only
        .address_space:  global
        .offset:         48
        .size:           8
        .value_kind:     global_buffer
      - .actual_access:  read_only
        .address_space:  global
        .offset:         56
        .size:           8
        .value_kind:     global_buffer
      - .offset:         64
        .size:           4
        .value_kind:     by_value
      - .actual_access:  read_only
        .address_space:  global
        .offset:         72
        .size:           8
        .value_kind:     global_buffer
      - .actual_access:  read_only
        .address_space:  global
        .offset:         80
        .size:           8
        .value_kind:     global_buffer
      - .actual_access:  read_only
        .address_space:  global
        .offset:         88
        .size:           8
        .value_kind:     global_buffer
      - .actual_access:  write_only
        .address_space:  global
        .offset:         96
        .size:           8
        .value_kind:     global_buffer
    .group_segment_fixed_size: 0
    .kernarg_segment_align: 8
    .kernarg_segment_size: 104
    .language:       OpenCL C
    .language_version:
      - 2
      - 0
    .max_flat_workgroup_size: 231
    .name:           fft_rtc_back_len1078_factors_2_11_7_7_wgs_231_tpt_77_halfLds_half_op_CI_CI_unitstride_sbrr_dirReg
    .private_segment_fixed_size: 0
    .sgpr_count:     41
    .sgpr_spill_count: 0
    .symbol:         fft_rtc_back_len1078_factors_2_11_7_7_wgs_231_tpt_77_halfLds_half_op_CI_CI_unitstride_sbrr_dirReg.kd
    .uniform_work_group_size: 1
    .uses_dynamic_stack: false
    .vgpr_count:     116
    .vgpr_spill_count: 0
    .wavefront_size: 32
    .workgroup_processor_mode: 1
amdhsa.target:   amdgcn-amd-amdhsa--gfx1201
amdhsa.version:
  - 1
  - 2
...

	.end_amdgpu_metadata
